;; amdgpu-corpus repo=ROCm/rocFFT kind=compiled arch=gfx1030 opt=O3
	.text
	.amdgcn_target "amdgcn-amd-amdhsa--gfx1030"
	.amdhsa_code_object_version 6
	.protected	fft_rtc_back_len240_factors_8_5_6_wgs_384_tpt_48_half_ip_CI_sbcc_twdbase8_2step_dirReg_intrinsicReadWrite ; -- Begin function fft_rtc_back_len240_factors_8_5_6_wgs_384_tpt_48_half_ip_CI_sbcc_twdbase8_2step_dirReg_intrinsicReadWrite
	.globl	fft_rtc_back_len240_factors_8_5_6_wgs_384_tpt_48_half_ip_CI_sbcc_twdbase8_2step_dirReg_intrinsicReadWrite
	.p2align	8
	.type	fft_rtc_back_len240_factors_8_5_6_wgs_384_tpt_48_half_ip_CI_sbcc_twdbase8_2step_dirReg_intrinsicReadWrite,@function
fft_rtc_back_len240_factors_8_5_6_wgs_384_tpt_48_half_ip_CI_sbcc_twdbase8_2step_dirReg_intrinsicReadWrite: ; @fft_rtc_back_len240_factors_8_5_6_wgs_384_tpt_48_half_ip_CI_sbcc_twdbase8_2step_dirReg_intrinsicReadWrite
; %bb.0:
	s_load_dwordx4 s[0:3], s[4:5], 0x18
	s_mov_b32 s7, 0
	s_mov_b64 s[24:25], 0
	s_waitcnt lgkmcnt(0)
	s_load_dwordx2 s[18:19], s[0:1], 0x8
	s_waitcnt lgkmcnt(0)
	s_add_u32 s8, s18, -1
	s_addc_u32 s9, s19, -1
	s_lshr_b64 s[8:9], s[8:9], 3
	s_add_u32 s20, s8, 1
	s_addc_u32 s21, s9, 0
	v_cmp_lt_u64_e64 s8, s[6:7], s[20:21]
	s_and_b32 vcc_lo, exec_lo, s8
	s_cbranch_vccnz .LBB0_2
; %bb.1:
	v_cvt_f32_u32_e32 v1, s20
	s_sub_i32 s9, 0, s20
	s_mov_b32 s25, s7
	v_rcp_iflag_f32_e32 v1, v1
	v_mul_f32_e32 v1, 0x4f7ffffe, v1
	v_cvt_u32_f32_e32 v1, v1
	v_readfirstlane_b32 s8, v1
	s_mul_i32 s9, s9, s8
	s_mul_hi_u32 s9, s8, s9
	s_add_i32 s8, s8, s9
	s_mul_hi_u32 s8, s6, s8
	s_mul_i32 s9, s8, s20
	s_add_i32 s10, s8, 1
	s_sub_i32 s9, s6, s9
	s_sub_i32 s11, s9, s20
	s_cmp_ge_u32 s9, s20
	s_cselect_b32 s8, s10, s8
	s_cselect_b32 s9, s11, s9
	s_add_i32 s10, s8, 1
	s_cmp_ge_u32 s9, s20
	s_cselect_b32 s24, s10, s8
.LBB0_2:
	s_load_dwordx4 s[8:11], s[2:3], 0x0
	s_load_dwordx4 s[12:15], s[4:5], 0x8
	s_waitcnt lgkmcnt(0)
	s_mul_i32 s9, s24, s21
	s_mul_hi_u32 s16, s24, s20
	s_mul_i32 s17, s24, s20
	s_add_i32 s16, s16, s9
	s_sub_u32 s22, s6, s17
	s_subb_u32 s23, 0, s16
	s_clause 0x1
	s_load_dwordx2 s[16:17], s[4:5], 0x0
	s_load_dwordx2 s[4:5], s[4:5], 0x58
	v_alignbit_b32 v1, s23, s22, 29
	s_lshl_b64 s[22:23], s[22:23], 3
	v_mul_lo_u32 v1, s10, v1
	s_mul_hi_u32 s9, s10, s22
	v_cmp_lt_u64_e64 s26, s[14:15], 3
	s_mul_i32 s27, s11, s22
	s_and_b32 vcc_lo, exec_lo, s26
	v_add_nc_u32_e32 v1, s9, v1
	s_mul_i32 s9, s10, s22
	v_mov_b32_e32 v7, s9
	v_add_nc_u32_e32 v1, s27, v1
	s_cbranch_vccnz .LBB0_9
; %bb.3:
	s_add_u32 s26, s2, 16
	s_addc_u32 s27, s3, 0
	s_add_u32 s0, s0, 16
	s_addc_u32 s1, s1, 0
	s_mov_b64 s[28:29], 2
	s_mov_b32 s30, 0
	s_branch .LBB0_5
.LBB0_4:                                ;   in Loop: Header=BB0_5 Depth=1
	s_load_dwordx2 s[38:39], s[26:27], 0x0
	s_mul_i32 s9, s34, s21
	s_mul_hi_u32 s21, s34, s20
	s_mul_i32 s31, s35, s20
	s_mul_i32 s33, s36, s35
	s_mul_hi_u32 s35, s36, s34
	s_mul_i32 s40, s37, s34
	s_add_i32 s9, s21, s9
	s_add_i32 s33, s35, s33
	s_mul_i32 s41, s36, s34
	s_add_i32 s21, s9, s31
	s_add_i32 s33, s33, s40
	s_sub_u32 s9, s24, s41
	s_subb_u32 s24, s25, s33
	s_mul_i32 s20, s34, s20
	s_waitcnt lgkmcnt(0)
	s_mul_i32 s24, s38, s24
	s_mul_hi_u32 s25, s38, s9
	s_mul_i32 s31, s39, s9
	s_add_i32 s24, s25, s24
	s_mul_i32 s9, s38, s9
	s_add_i32 s24, s24, s31
	s_add_u32 s28, s28, 1
	s_addc_u32 s29, s29, 0
	v_add_co_u32 v7, vcc_lo, s9, v7
	v_cmp_ge_u64_e64 s25, s[28:29], s[14:15]
	v_add_co_ci_u32_e32 v1, vcc_lo, s24, v1, vcc_lo
	s_add_u32 s26, s26, 8
	s_addc_u32 s27, s27, 0
	s_add_u32 s0, s0, 8
	s_addc_u32 s1, s1, 0
	s_and_b32 vcc_lo, exec_lo, s25
	s_mov_b64 s[24:25], s[36:37]
	s_cbranch_vccnz .LBB0_10
.LBB0_5:                                ; =>This Inner Loop Header: Depth=1
	s_load_dwordx2 s[34:35], s[0:1], 0x0
	s_mov_b32 s9, -1
	s_waitcnt lgkmcnt(0)
	s_or_b64 s[36:37], s[24:25], s[34:35]
	s_mov_b32 s31, s37
                                        ; implicit-def: $sgpr36_sgpr37
	s_cmp_lg_u64 s[30:31], 0
	s_cbranch_scc0 .LBB0_7
; %bb.6:                                ;   in Loop: Header=BB0_5 Depth=1
	v_cvt_f32_u32_e32 v2, s34
	v_cvt_f32_u32_e32 v3, s35
	s_sub_u32 s33, 0, s34
	s_subb_u32 s36, 0, s35
	v_fmac_f32_e32 v2, 0x4f800000, v3
	v_rcp_f32_e32 v2, v2
	v_mul_f32_e32 v2, 0x5f7ffffc, v2
	v_mul_f32_e32 v3, 0x2f800000, v2
	v_trunc_f32_e32 v3, v3
	v_fmac_f32_e32 v2, 0xcf800000, v3
	v_cvt_u32_f32_e32 v3, v3
	v_cvt_u32_f32_e32 v2, v2
	v_readfirstlane_b32 s9, v3
	v_readfirstlane_b32 s31, v2
	s_mul_i32 s37, s33, s9
	s_mul_hi_u32 s39, s33, s31
	s_mul_i32 s38, s36, s31
	s_add_i32 s37, s39, s37
	s_mul_i32 s40, s33, s31
	s_add_i32 s37, s37, s38
	s_mul_hi_u32 s39, s31, s40
	s_mul_hi_u32 s41, s9, s40
	s_mul_i32 s38, s9, s40
	s_mul_hi_u32 s40, s31, s37
	s_mul_i32 s31, s31, s37
	s_mul_hi_u32 s42, s9, s37
	s_add_u32 s31, s39, s31
	s_addc_u32 s39, 0, s40
	s_add_u32 s31, s31, s38
	s_mul_i32 s37, s9, s37
	s_addc_u32 s31, s39, s41
	s_addc_u32 s38, s42, 0
	s_add_u32 s31, s31, s37
	s_addc_u32 s37, 0, s38
	v_add_co_u32 v2, s31, v2, s31
	s_cmp_lg_u32 s31, 0
	s_addc_u32 s9, s9, s37
	v_readfirstlane_b32 s31, v2
	s_mul_i32 s37, s33, s9
	s_mul_hi_u32 s38, s33, s31
	s_mul_i32 s36, s36, s31
	s_add_i32 s37, s38, s37
	s_mul_i32 s33, s33, s31
	s_add_i32 s37, s37, s36
	s_mul_hi_u32 s38, s9, s33
	s_mul_i32 s39, s9, s33
	s_mul_hi_u32 s33, s31, s33
	s_mul_hi_u32 s40, s31, s37
	s_mul_i32 s31, s31, s37
	s_mul_hi_u32 s36, s9, s37
	s_add_u32 s31, s33, s31
	s_addc_u32 s33, 0, s40
	s_add_u32 s31, s31, s39
	s_mul_i32 s37, s9, s37
	s_addc_u32 s31, s33, s38
	s_addc_u32 s33, s36, 0
	s_add_u32 s31, s31, s37
	s_addc_u32 s33, 0, s33
	v_add_co_u32 v2, s31, v2, s31
	s_cmp_lg_u32 s31, 0
	s_addc_u32 s9, s9, s33
	v_readfirstlane_b32 s31, v2
	s_mul_i32 s36, s24, s9
	s_mul_hi_u32 s33, s24, s9
	s_mul_hi_u32 s37, s25, s9
	s_mul_i32 s9, s25, s9
	s_mul_hi_u32 s38, s24, s31
	s_mul_hi_u32 s39, s25, s31
	s_mul_i32 s31, s25, s31
	s_add_u32 s36, s38, s36
	s_addc_u32 s33, 0, s33
	s_add_u32 s31, s36, s31
	s_addc_u32 s31, s33, s39
	s_addc_u32 s33, s37, 0
	s_add_u32 s31, s31, s9
	s_addc_u32 s33, 0, s33
	s_mul_hi_u32 s9, s34, s31
	s_mul_i32 s37, s34, s33
	s_mul_i32 s38, s34, s31
	s_add_i32 s9, s9, s37
	v_sub_co_u32 v2, s37, s24, s38
	s_mul_i32 s36, s35, s31
	s_add_i32 s9, s9, s36
	v_sub_co_u32 v3, s38, v2, s34
	s_sub_i32 s36, s25, s9
	s_cmp_lg_u32 s37, 0
	s_subb_u32 s36, s36, s35
	s_cmp_lg_u32 s38, 0
	v_readfirstlane_b32 s38, v3
	s_subb_u32 s36, s36, 0
	s_cmp_ge_u32 s36, s35
	s_cselect_b32 s39, -1, 0
	s_cmp_ge_u32 s38, s34
	s_cselect_b32 s38, -1, 0
	s_cmp_eq_u32 s36, s35
	s_cselect_b32 s36, s38, s39
	s_add_u32 s38, s31, 1
	s_addc_u32 s39, s33, 0
	s_add_u32 s40, s31, 2
	s_addc_u32 s41, s33, 0
	s_cmp_lg_u32 s36, 0
	s_cselect_b32 s36, s40, s38
	s_cselect_b32 s38, s41, s39
	s_cmp_lg_u32 s37, 0
	v_readfirstlane_b32 s37, v2
	s_subb_u32 s9, s25, s9
	s_cmp_ge_u32 s9, s35
	s_cselect_b32 s39, -1, 0
	s_cmp_ge_u32 s37, s34
	s_cselect_b32 s37, -1, 0
	s_cmp_eq_u32 s9, s35
	s_cselect_b32 s9, s37, s39
	s_cmp_lg_u32 s9, 0
	s_mov_b32 s9, 0
	s_cselect_b32 s37, s38, s33
	s_cselect_b32 s36, s36, s31
.LBB0_7:                                ;   in Loop: Header=BB0_5 Depth=1
	s_andn2_b32 vcc_lo, exec_lo, s9
	s_cbranch_vccnz .LBB0_4
; %bb.8:                                ;   in Loop: Header=BB0_5 Depth=1
	v_cvt_f32_u32_e32 v2, s34
	s_sub_i32 s31, 0, s34
	s_mov_b32 s37, s30
	v_rcp_iflag_f32_e32 v2, v2
	v_mul_f32_e32 v2, 0x4f7ffffe, v2
	v_cvt_u32_f32_e32 v2, v2
	v_readfirstlane_b32 s9, v2
	s_mul_i32 s31, s31, s9
	s_mul_hi_u32 s31, s9, s31
	s_add_i32 s9, s9, s31
	s_mul_hi_u32 s9, s24, s9
	s_mul_i32 s31, s9, s34
	s_add_i32 s33, s9, 1
	s_sub_i32 s31, s24, s31
	s_sub_i32 s36, s31, s34
	s_cmp_ge_u32 s31, s34
	s_cselect_b32 s9, s33, s9
	s_cselect_b32 s31, s36, s31
	s_add_i32 s33, s9, 1
	s_cmp_ge_u32 s31, s34
	s_cselect_b32 s36, s33, s9
	s_branch .LBB0_4
.LBB0_9:
	v_mov_b32_e32 v5, s24
	v_mov_b32_e32 v6, s25
	s_branch .LBB0_12
.LBB0_10:
	v_cmp_lt_u64_e64 s0, s[6:7], s[20:21]
	v_mov_b32_e32 v5, 0
	v_mov_b32_e32 v6, 0
	s_and_b32 vcc_lo, exec_lo, s0
	s_cbranch_vccnz .LBB0_12
; %bb.11:
	v_cvt_f32_u32_e32 v1, s20
	s_sub_i32 s0, 0, s20
	v_rcp_iflag_f32_e32 v1, v1
	v_mul_f32_e32 v1, 0x4f7ffffe, v1
	v_cvt_u32_f32_e32 v1, v1
	v_mul_lo_u32 v2, s0, v1
	v_mul_hi_u32 v2, v1, v2
	v_add_nc_u32_e32 v1, v1, v2
	v_mul_hi_u32 v1, s6, v1
	v_mul_lo_u32 v2, v1, s20
	v_add_nc_u32_e32 v3, 1, v1
	v_sub_nc_u32_e32 v2, s6, v2
	v_subrev_nc_u32_e32 v4, s20, v2
	v_cmp_le_u32_e32 vcc_lo, s20, v2
	v_cndmask_b32_e32 v2, v2, v4, vcc_lo
	v_cndmask_b32_e32 v1, v1, v3, vcc_lo
	v_cmp_le_u32_e32 vcc_lo, s20, v2
	v_add_nc_u32_e32 v3, 1, v1
	v_cndmask_b32_e32 v5, v1, v3, vcc_lo
.LBB0_12:
	s_lshl_b64 s[0:1], s[14:15], 3
	v_and_b32_e32 v21, 7, v0
	s_add_u32 s0, s2, s0
	s_addc_u32 s1, s3, s1
	v_mov_b32_e32 v4, s23
	s_load_dword s9, s[0:1], 0x0
	v_or_b32_e32 v3, s22, v21
	s_add_u32 s2, s22, 8
	v_cmp_gt_u32_e64 s0, 0xf0, v0
	s_addc_u32 s3, s23, 0
	v_cmp_lt_u32_e32 vcc_lo, 0xef, v0
	v_cmp_gt_u64_e64 s1, s[18:19], v[3:4]
	v_cmp_le_u64_e64 s2, s[2:3], s[18:19]
	v_cndmask_b32_e64 v6, 0, 1, s0
	v_lshrrev_b32_e32 v13, 3, v0
	v_mad_u64_u32 v[1:2], null, s10, v21, 0
	v_cndmask_b32_e64 v12, 0, 1, s1
	s_or_b32 vcc_lo, vcc_lo, s2
	v_mul_lo_u32 v8, s8, v13
	v_add_nc_u32_e32 v9, 30, v13
	v_add_nc_u32_e32 v4, 60, v13
	v_cndmask_b32_e32 v6, v12, v6, vcc_lo
	v_add_nc_u32_e32 v10, 0x5a, v13
	v_add_nc_u32_e32 v14, 0x78, v13
	s_waitcnt lgkmcnt(0)
	v_mul_lo_u32 v5, s9, v5
	v_mul_lo_u32 v9, s8, v9
	v_and_b32_e32 v6, 1, v6
	v_add_lshl_u32 v8, v1, v8, 2
	v_add_nc_u32_e32 v15, 0x96, v13
	v_mul_lo_u32 v4, s8, v4
	s_mov_b32 s7, 0x31014000
	v_cmp_eq_u32_e32 vcc_lo, 1, v6
	v_add_nc_u32_e32 v5, v5, v7
	v_add_lshl_u32 v7, v1, v9, 2
	v_mul_lo_u32 v9, s8, v10
	v_mul_lo_u32 v10, s8, v14
	v_cndmask_b32_e32 v6, -1, v8, vcc_lo
	v_lshlrev_b32_e32 v11, 2, v5
	v_add_nc_u32_e32 v5, 0xb4, v13
	v_add_nc_u32_e32 v8, 0xd2, v13
	v_mul_lo_u32 v14, s8, v15
	v_add_lshl_u32 v4, v1, v4, 2
	v_add_lshl_u32 v9, v1, v9, 2
	v_mul_lo_u32 v5, s8, v5
	v_mul_lo_u32 v8, s8, v8
	v_add_lshl_u32 v10, v1, v10, 2
	v_readfirstlane_b32 s1, v11
	v_cndmask_b32_e32 v7, -1, v7, vcc_lo
	v_add_lshl_u32 v14, v1, v14, 2
	v_cndmask_b32_e32 v4, -1, v4, vcc_lo
	s_mov_b32 s6, -2
	v_add_lshl_u32 v5, v1, v5, 2
	v_add_lshl_u32 v8, v1, v8, 2
	v_cndmask_b32_e32 v15, -1, v9, vcc_lo
	v_cndmask_b32_e32 v10, -1, v10, vcc_lo
	;; [unrolled: 1-line block ×5, first 2 shown]
	s_clause 0x7
	buffer_load_dword v9, v6, s[4:7], s1 offen
	buffer_load_dword v8, v7, s[4:7], s1 offen
	;; [unrolled: 1-line block ×8, first 2 shown]
	s_waitcnt vmcnt(3)
	v_pk_add_f16 v18, v9, v4 neg_lo:[0,1] neg_hi:[0,1]
	s_waitcnt vmcnt(2)
	v_pk_add_f16 v10, v16, v5 op_sel:[1,1] op_sel_hi:[0,0] neg_lo:[0,1] neg_hi:[0,1]
	s_waitcnt vmcnt(1)
	v_pk_add_f16 v15, v8, v6 neg_lo:[0,1] neg_hi:[0,1]
	s_waitcnt vmcnt(0)
	v_pk_add_f16 v14, v17, v7 op_sel:[1,1] op_sel_hi:[0,0] neg_lo:[0,1] neg_hi:[0,1]
	v_pk_add_f16 v4, v18, v10
	v_pk_add_f16 v19, v18, v10 neg_lo:[0,1] neg_hi:[0,1]
	v_pk_add_f16 v5, v15, v14
	v_pk_add_f16 v6, v15, v14 neg_lo:[0,1] neg_hi:[0,1]
	v_bfi_b32 v4, 0xffff, v4, v19
	v_bfi_b32 v7, 0xffff, v5, v6
	v_pk_fma_f16 v6, v18, 2.0, v4 op_sel_hi:[1,0,1] neg_lo:[0,0,1] neg_hi:[0,0,1]
	v_pk_fma_f16 v5, v15, 2.0, v7 op_sel_hi:[1,0,1] neg_lo:[0,0,1] neg_hi:[0,0,1]
	v_pk_mul_f16 v19, 0x39a8, v5 op_sel_hi:[0,1]
	v_pk_fma_f16 v5, 0x39a8, v5, v6 op_sel_hi:[0,1,1] neg_lo:[0,1,0] neg_hi:[0,1,0]
	v_pk_add_f16 v22, v5, v19 op_sel:[0,1] op_sel_hi:[1,0]
	v_pk_add_f16 v5, v5, v19 op_sel:[0,1] op_sel_hi:[1,0] neg_lo:[0,1] neg_hi:[0,1]
	v_mad_u64_u32 v[19:20], null, s11, v21, v[2:3]
	v_lshlrev_b32_e32 v2, 2, v21
	v_bfi_b32 v5, 0xffff, v22, v5
	s_and_saveexec_b32 s1, s0
	s_cbranch_execz .LBB0_14
; %bb.13:
	v_alignbit_b32 v16, v16, v16, 16
	v_alignbit_b32 v17, v17, v17, 16
	v_pk_fma_f16 v9, v9, 2.0, v18 op_sel_hi:[1,0,1] neg_lo:[0,0,1] neg_hi:[0,0,1]
	v_pk_fma_f16 v8, v8, 2.0, v15 op_sel_hi:[1,0,1] neg_lo:[0,0,1] neg_hi:[0,0,1]
	v_pk_mul_f16 v15, 0x39a8, v7 op_sel_hi:[0,1]
	v_pk_fma_f16 v10, v16, 2.0, v10 op_sel_hi:[1,0,1] neg_lo:[0,0,1] neg_hi:[0,0,1]
	v_pk_fma_f16 v14, v17, 2.0, v14 op_sel_hi:[1,0,1] neg_lo:[0,0,1] neg_hi:[0,0,1]
	v_pk_fma_f16 v7, 0x39a8, v7, v4 op_sel_hi:[0,1,1]
	v_pk_fma_f16 v6, v6, 2.0, v5 op_sel_hi:[1,0,1] neg_lo:[0,0,1] neg_hi:[0,0,1]
	v_pk_add_f16 v10, v9, v10 op_sel:[0,1] op_sel_hi:[1,0] neg_lo:[0,1] neg_hi:[0,1]
	v_pk_add_f16 v14, v8, v14 op_sel:[1,0] op_sel_hi:[0,1] neg_lo:[0,1] neg_hi:[0,1]
	v_pk_add_f16 v16, v7, v15 op_sel:[0,1] op_sel_hi:[1,0]
	v_pk_add_f16 v7, v7, v15 op_sel:[0,1] op_sel_hi:[1,0] neg_lo:[0,1] neg_hi:[0,1]
	v_pk_fma_f16 v9, v9, 2.0, v10 op_sel_hi:[1,0,1] neg_lo:[0,0,1] neg_hi:[0,0,1]
	v_pk_fma_f16 v8, v8, 2.0, v14 op_sel:[1,0,0] op_sel_hi:[0,0,1] neg_lo:[0,0,1] neg_hi:[0,0,1]
	v_pk_add_f16 v15, v10, v14
	v_pk_add_f16 v14, v10, v14 neg_lo:[0,1] neg_hi:[0,1]
	v_bfi_b32 v7, 0xffff, v16, v7
	v_lshrrev_b32_e32 v17, 16, v9
	v_pk_add_f16 v8, v9, v8 op_sel:[0,1] op_sel_hi:[1,0] neg_lo:[0,1] neg_hi:[0,1]
	v_bfi_b32 v14, 0xffff, v15, v14
	v_pk_fma_f16 v4, v4, 2.0, v7 op_sel_hi:[1,0,1] neg_lo:[0,0,1] neg_hi:[0,0,1]
	v_lshrrev_b32_e32 v18, 16, v8
	v_fma_f16 v9, v9, 2.0, -v8
	v_pk_fma_f16 v10, v10, 2.0, v14 op_sel_hi:[1,0,1] neg_lo:[0,0,1] neg_hi:[0,0,1]
	v_fma_f16 v17, v17, 2.0, -v18
	v_lshlrev_b32_e32 v18, 8, v13
	v_lshlrev_b32_e32 v15, 16, v17
	v_add3_u32 v16, 0, v18, v2
	v_or_b32_sdwa v9, v15, v9 dst_sel:DWORD dst_unused:UNUSED_PAD src0_sel:DWORD src1_sel:WORD_0
	ds_write2_b32 v16, v8, v5 offset0:32 offset1:40
	ds_write2_b32 v16, v10, v4 offset0:16 offset1:24
	ds_write2_b32 v16, v9, v6 offset1:8
	ds_write2_b32 v16, v14, v7 offset0:48 offset1:56
.LBB0_14:
	s_or_b32 exec_lo, exec_lo, s1
	v_bfe_u32 v4, v0, 3, 3
	s_waitcnt lgkmcnt(0)
	s_barrier
	buffer_gl0_inv
	v_lshrrev_b32_e32 v10, 6, v0
	v_lshlrev_b32_e32 v6, 4, v4
	v_cmp_gt_u32_e32 vcc_lo, 0x140, v0
	v_mul_u32_u24_e32 v10, 40, v10
	global_load_dwordx4 v[19:22], v6, s[16:17]
	v_lshlrev_b32_e32 v6, 5, v13
	v_or_b32_e32 v4, v10, v4
	v_add3_u32 v18, 0, v6, v2
	v_lshlrev_b32_e32 v4, 5, v4
	ds_read2st64_b32 v[6:7], v18 offset1:6
	ds_read2st64_b32 v[8:9], v18 offset0:12 offset1:18
	ds_read_b32 v15, v18 offset:6144
	ds_read_u16 v14, v18 offset:2
	v_add3_u32 v23, 0, v4, v2
	s_waitcnt vmcnt(0) lgkmcnt(0)
	s_barrier
	buffer_gl0_inv
	v_lshrrev_b32_e32 v2, 16, v8
	v_lshrrev_b32_e32 v10, 16, v7
	;; [unrolled: 1-line block ×4, first 2 shown]
	v_mul_f16_sdwa v17, v19, v10 dst_sel:DWORD dst_unused:UNUSED_PAD src0_sel:WORD_1 src1_sel:DWORD
	v_mul_f16_sdwa v24, v19, v7 dst_sel:DWORD dst_unused:UNUSED_PAD src0_sel:WORD_1 src1_sel:DWORD
	;; [unrolled: 1-line block ×8, first 2 shown]
	v_fmac_f16_e32 v17, v19, v7
	v_fma_f16 v7, v19, v10, -v24
	v_fmac_f16_e32 v25, v20, v8
	v_fma_f16 v2, v20, v2, -v26
	;; [unrolled: 2-line block ×3, first 2 shown]
	v_fma_f16 v16, v21, v4, -v28
	v_fmac_f16_e32 v29, v22, v15
	v_add_f16_e32 v4, v17, v6
	v_add_f16_e32 v8, v25, v27
	v_sub_f16_e32 v9, v17, v25
	v_add_f16_e32 v26, v14, v7
	v_sub_f16_e32 v15, v29, v27
	v_add_f16_e32 v28, v2, v16
	v_add_f16_e32 v21, v17, v29
	;; [unrolled: 1-line block ×3, first 2 shown]
	v_sub_f16_e32 v19, v7, v10
	v_sub_f16_e32 v20, v2, v16
	;; [unrolled: 1-line block ×7, first 2 shown]
	v_add_f16_e32 v25, v4, v25
	v_fma_f16 v4, -0.5, v8, v6
	v_add_f16_e32 v35, v9, v15
	v_add_f16_e32 v2, v26, v2
	v_fma_f16 v15, -0.5, v28, v14
	v_sub_f16_e32 v24, v27, v29
	v_sub_f16_e32 v32, v10, v16
	v_fmac_f16_e32 v6, -0.5, v21
	v_fmac_f16_e32 v14, -0.5, v33
	v_sub_f16_e32 v34, v16, v10
	v_fmamk_f16 v8, v19, 0xbb9c, v4
	v_add_f16_e32 v2, v2, v16
	v_fmamk_f16 v16, v30, 0x3b9c, v15
	v_add_f16_e32 v21, v22, v24
	v_add_f16_e32 v22, v17, v32
	v_fmamk_f16 v9, v20, 0x3b9c, v6
	v_fmac_f16_e32 v6, 0xbb9c, v20
	v_fmamk_f16 v17, v31, 0xbb9c, v14
	v_fmac_f16_e32 v14, 0x3b9c, v31
	v_fmac_f16_e32 v4, 0x3b9c, v19
	;; [unrolled: 1-line block ×3, first 2 shown]
	v_add_f16_e32 v24, v7, v34
	v_add_f16_e32 v7, v25, v27
	v_fmac_f16_e32 v8, 0xb8b4, v20
	v_fmac_f16_e32 v16, 0x38b4, v31
	;; [unrolled: 1-line block ×8, first 2 shown]
	v_add_f16_e32 v7, v7, v29
	v_add_f16_e32 v2, v2, v10
	v_fmac_f16_e32 v8, 0x34f2, v35
	v_fmac_f16_e32 v16, 0x34f2, v22
	;; [unrolled: 1-line block ×8, first 2 shown]
	v_pack_b32_f16 v10, v7, v2
	v_pack_b32_f16 v19, v8, v16
	;; [unrolled: 1-line block ×5, first 2 shown]
	ds_write2st64_b32 v23, v10, v19 offset1:1
	ds_write2st64_b32 v23, v20, v21 offset0:2 offset1:3
	ds_write_b32 v23, v22 offset:1024
	s_waitcnt lgkmcnt(0)
	s_barrier
	buffer_gl0_inv
	s_and_saveexec_b32 s0, vcc_lo
	s_cbranch_execz .LBB0_16
; %bb.15:
	ds_read2st64_b32 v[7:8], v18 offset1:5
	ds_read2st64_b32 v[9:10], v18 offset0:10 offset1:15
	ds_read2st64_b32 v[4:5], v18 offset0:20 offset1:25
	s_waitcnt lgkmcnt(2)
	v_lshrrev_b32_e32 v16, 16, v8
	s_waitcnt lgkmcnt(1)
	v_lshrrev_b32_e32 v17, 16, v9
	v_lshrrev_b32_e32 v14, 16, v10
	s_waitcnt lgkmcnt(0)
	v_lshrrev_b32_e32 v15, 16, v4
	v_lshrrev_b32_e32 v2, 16, v7
	v_mov_b32_e32 v6, v10
.LBB0_16:
	s_or_b32 exec_lo, exec_lo, s0
	v_mul_lo_u16 v10, v13, 13
	v_mov_b32_e32 v22, 2
	v_cmp_gt_u32_e64 s0, 0x140, v0
	v_cmp_lt_u32_e32 vcc_lo, 0x13f, v0
	v_lshrrev_b16 v10, 9, v10
	s_or_b32 vcc_lo, vcc_lo, s2
	v_mul_lo_u16 v10, v10, 40
	v_sub_nc_u16 v10, v13, v10
	v_and_b32_e32 v10, 0xff, v10
	v_mul_u32_u24_e32 v13, 5, v10
	v_mul_lo_u32 v23, v3, v10
	v_add_nc_u32_e32 v24, 40, v10
	v_add_nc_u32_e32 v25, 0x50, v10
	;; [unrolled: 1-line block ×3, first 2 shown]
	v_lshlrev_b32_e32 v13, 2, v13
	v_add_nc_u32_e32 v27, 0xa0, v10
	v_add_nc_u32_e32 v28, 0xc8, v10
	v_mul_lo_u32 v24, v3, v24
	v_lshlrev_b32_sdwa v29, v22, v23 dst_sel:DWORD dst_unused:UNUSED_PAD src0_sel:DWORD src1_sel:BYTE_0
	s_clause 0x1
	global_load_dwordx4 v[18:21], v13, s[16:17] offset:128
	global_load_dword v13, v13, s[16:17] offset:144
	v_lshlrev_b32_sdwa v23, v22, v23 dst_sel:DWORD dst_unused:UNUSED_PAD src0_sel:DWORD src1_sel:BYTE_1
	v_mul_lo_u32 v25, v3, v25
	v_mul_lo_u32 v26, v3, v26
	s_clause 0x1
	global_load_dword v29, v29, s[12:13]
	global_load_dword v23, v23, s[12:13] offset:1024
	v_mul_lo_u32 v27, v3, v27
	v_mul_lo_u32 v3, v3, v28
	v_lshlrev_b32_sdwa v28, v22, v24 dst_sel:DWORD dst_unused:UNUSED_PAD src0_sel:DWORD src1_sel:BYTE_0
	v_lshlrev_b32_sdwa v24, v22, v24 dst_sel:DWORD dst_unused:UNUSED_PAD src0_sel:DWORD src1_sel:BYTE_1
	v_lshlrev_b32_sdwa v30, v22, v25 dst_sel:DWORD dst_unused:UNUSED_PAD src0_sel:DWORD src1_sel:BYTE_0
	v_lshlrev_b32_sdwa v25, v22, v25 dst_sel:DWORD dst_unused:UNUSED_PAD src0_sel:DWORD src1_sel:BYTE_1
	;; [unrolled: 2-line block ×5, first 2 shown]
	s_clause 0x9
	global_load_dword v22, v28, s[12:13]
	global_load_dword v24, v24, s[12:13] offset:1024
	global_load_dword v28, v30, s[12:13]
	global_load_dword v25, v25, s[12:13] offset:1024
	;; [unrolled: 2-line block ×5, first 2 shown]
	v_mul_u32_u24_e32 v33, 0xcd, v0
	v_cndmask_b32_e64 v0, 0, 1, s0
	v_readfirstlane_b32 s0, v11
	v_lshrrev_b32_e32 v33, 16, v33
	v_cndmask_b32_e32 v0, v12, v0, vcc_lo
	v_lshrrev_b32_e32 v12, 16, v5
	v_mul_lo_u16 v33, 0xf0, v33
	v_and_b32_e32 v0, 1, v0
	v_add_nc_u32_sdwa v10, v33, v10 dst_sel:DWORD dst_unused:UNUSED_PAD src0_sel:WORD_0 src1_sel:DWORD
	v_cmp_eq_u32_e32 vcc_lo, 1, v0
	v_mul_lo_u32 v33, s8, v10
	v_add_nc_u32_e32 v34, 40, v10
	v_add_nc_u32_e32 v35, 0x50, v10
	;; [unrolled: 1-line block ×5, first 2 shown]
	v_mul_lo_u32 v34, s8, v34
	v_mul_lo_u32 v35, s8, v35
	;; [unrolled: 1-line block ×4, first 2 shown]
	v_add_lshl_u32 v33, v1, v33, 2
	v_mul_lo_u32 v10, s8, v10
	v_add_lshl_u32 v11, v1, v34, 2
	v_cndmask_b32_e32 v0, -1, v33, vcc_lo
	v_add_lshl_u32 v33, v1, v35, 2
	v_add_lshl_u32 v34, v1, v36, 2
	;; [unrolled: 1-line block ×4, first 2 shown]
	v_cndmask_b32_e32 v10, -1, v11, vcc_lo
	v_cndmask_b32_e32 v11, -1, v33, vcc_lo
	;; [unrolled: 1-line block ×5, first 2 shown]
	s_waitcnt vmcnt(13)
	v_mul_f16_sdwa v35, v16, v18 dst_sel:DWORD dst_unused:UNUSED_PAD src0_sel:DWORD src1_sel:WORD_1
	v_mul_f16_sdwa v36, v8, v18 dst_sel:DWORD dst_unused:UNUSED_PAD src0_sel:DWORD src1_sel:WORD_1
	;; [unrolled: 1-line block ×4, first 2 shown]
	s_waitcnt vmcnt(12)
	v_mul_f16_sdwa v43, v12, v13 dst_sel:DWORD dst_unused:UNUSED_PAD src0_sel:DWORD src1_sel:WORD_1
	v_mul_f16_sdwa v44, v5, v13 dst_sel:DWORD dst_unused:UNUSED_PAD src0_sel:DWORD src1_sel:WORD_1
	;; [unrolled: 1-line block ×6, first 2 shown]
	s_waitcnt vmcnt(11)
	v_lshrrev_b32_e32 v45, 16, v29
	v_fmac_f16_e32 v35, v8, v18
	v_fma_f16 v8, v16, v18, -v36
	v_fmac_f16_e32 v39, v6, v20
	v_fma_f16 v6, v14, v20, -v40
	;; [unrolled: 2-line block ×3, first 2 shown]
	s_waitcnt vmcnt(10)
	v_mul_f16_sdwa v46, v29, v23 dst_sel:DWORD dst_unused:UNUSED_PAD src0_sel:DWORD src1_sel:WORD_1
	v_fmac_f16_e32 v37, v9, v19
	v_fma_f16 v9, v17, v19, -v38
	v_fmac_f16_e32 v41, v4, v21
	v_fma_f16 v4, v15, v21, -v42
	v_mul_f16_sdwa v12, v45, v23 dst_sel:DWORD dst_unused:UNUSED_PAD src0_sel:DWORD src1_sel:WORD_1
	s_waitcnt vmcnt(9)
	v_lshrrev_b32_e32 v13, 16, v22
	v_sub_f16_e32 v48, v6, v5
	v_add_f16_e32 v49, v8, v6
	v_add_f16_e32 v6, v6, v5
	v_fmac_f16_e32 v46, v45, v23
	s_waitcnt vmcnt(8)
	v_mul_f16_sdwa v14, v22, v24 dst_sel:DWORD dst_unused:UNUSED_PAD src0_sel:DWORD src1_sel:WORD_1
	s_waitcnt vmcnt(7)
	v_lshrrev_b32_e32 v15, 16, v28
	s_waitcnt vmcnt(6)
	v_mul_f16_sdwa v16, v28, v25 dst_sel:DWORD dst_unused:UNUSED_PAD src0_sel:DWORD src1_sel:WORD_1
	s_waitcnt vmcnt(5)
	v_lshrrev_b32_e32 v17, 16, v30
	;; [unrolled: 4-line block ×4, first 2 shown]
	s_waitcnt vmcnt(0)
	v_mul_f16_sdwa v36, v32, v3 dst_sel:DWORD dst_unused:UNUSED_PAD src0_sel:DWORD src1_sel:WORD_1
	v_add_f16_e32 v38, v7, v37
	v_sub_f16_e32 v42, v9, v4
	v_add_f16_e32 v44, v2, v9
	v_add_f16_e32 v9, v9, v4
	v_add_f16_e32 v45, v35, v39
	v_add_f16_e32 v47, v39, v43
	v_sub_f16_e32 v39, v39, v43
	v_fma_f16 v12, v29, v23, -v12
	v_mul_f16_sdwa v23, v13, v24 dst_sel:DWORD dst_unused:UNUSED_PAD src0_sel:DWORD src1_sel:WORD_1
	v_fmac_f16_e32 v8, -0.5, v6
	v_add_f16_e32 v40, v37, v41
	v_fmac_f16_e32 v14, v13, v24
	v_mul_f16_sdwa v13, v15, v25 dst_sel:DWORD dst_unused:UNUSED_PAD src0_sel:DWORD src1_sel:WORD_1
	v_fmac_f16_e32 v16, v15, v25
	v_mul_f16_sdwa v15, v17, v26 dst_sel:DWORD dst_unused:UNUSED_PAD src0_sel:DWORD src1_sel:WORD_1
	;; [unrolled: 2-line block ×4, first 2 shown]
	v_fmac_f16_e32 v36, v21, v3
	v_add_f16_e32 v21, v38, v41
	v_add_f16_e32 v4, v44, v4
	v_fmac_f16_e32 v2, -0.5, v9
	v_add_f16_e32 v9, v45, v43
	v_fmac_f16_e32 v35, -0.5, v47
	v_add_f16_e32 v5, v49, v5
	v_fma_f16 v6, v22, v24, -v23
	v_fmamk_f16 v24, v39, 0x3aee, v8
	v_fmac_f16_e32 v8, 0xbaee, v39
	v_sub_f16_e32 v37, v37, v41
	v_fmac_f16_e32 v7, -0.5, v40
	v_fma_f16 v13, v28, v25, -v13
	v_fma_f16 v15, v30, v26, -v15
	v_fmamk_f16 v23, v48, 0xbaee, v35
	v_add_f16_e32 v25, v21, v9
	v_add_f16_e32 v26, v4, v5
	v_sub_f16_e32 v9, v21, v9
	v_sub_f16_e32 v4, v4, v5
	v_mul_f16_e32 v5, 0xbaee, v24
	v_mul_f16_e32 v24, 0.5, v24
	v_fmac_f16_e32 v35, 0x3aee, v48
	v_mul_f16_e32 v21, 0xbaee, v8
	v_mul_f16_e32 v8, -0.5, v8
	v_fma_f16 v17, v31, v27, -v17
	v_fma_f16 v3, v32, v3, -v19
	v_fmamk_f16 v19, v42, 0xbaee, v7
	v_fmamk_f16 v22, v37, 0x3aee, v2
	v_mul_f16_e32 v27, v26, v46
	v_mul_f16_e32 v28, v25, v46
	;; [unrolled: 1-line block ×4, first 2 shown]
	v_fmac_f16_e32 v5, 0.5, v23
	v_fmac_f16_e32 v24, 0x3aee, v23
	v_fmac_f16_e32 v7, 0x3aee, v42
	;; [unrolled: 1-line block ×3, first 2 shown]
	v_fmac_f16_e32 v21, -0.5, v35
	v_fmac_f16_e32 v8, 0x3aee, v35
	v_fmac_f16_e32 v27, v25, v12
	v_fma_f16 v12, v26, v12, -v28
	v_fmac_f16_e32 v29, v9, v15
	v_fma_f16 v4, v4, v15, -v18
	v_add_f16_e32 v9, v19, v5
	v_add_f16_e32 v18, v22, v24
	;; [unrolled: 1-line block ×4, first 2 shown]
	v_sub_f16_e32 v5, v19, v5
	v_sub_f16_e32 v19, v22, v24
	;; [unrolled: 1-line block ×4, first 2 shown]
	v_lshlrev_b32_e32 v8, 16, v12
	v_mul_f16_e32 v12, v18, v14
	v_mul_f16_e32 v14, v9, v14
	v_mul_f16_e32 v21, v23, v16
	v_mul_f16_e32 v16, v15, v16
	v_mul_f16_e32 v22, v19, v20
	v_mul_f16_e32 v20, v5, v20
	v_mul_f16_e32 v25, v7, v36
	v_fmac_f16_e32 v12, v9, v6
	v_fma_f16 v6, v18, v6, -v14
	v_fma_f16 v9, v23, v13, -v16
	v_mul_f16_e32 v24, v2, v36
	v_fmac_f16_e32 v22, v5, v17
	v_fma_f16 v5, v19, v17, -v20
	v_fma_f16 v2, v2, v3, -v25
	v_lshlrev_b32_e32 v6, 16, v6
	v_fmac_f16_e32 v21, v15, v13
	v_lshlrev_b32_e32 v9, 16, v9
	v_lshlrev_b32_e32 v4, 16, v4
	v_or_b32_sdwa v8, v8, v27 dst_sel:DWORD dst_unused:UNUSED_PAD src0_sel:DWORD src1_sel:WORD_0
	v_fmac_f16_e32 v24, v7, v3
	v_lshlrev_b32_e32 v3, 16, v5
	v_lshlrev_b32_e32 v2, 16, v2
	v_or_b32_sdwa v5, v6, v12 dst_sel:DWORD dst_unused:UNUSED_PAD src0_sel:DWORD src1_sel:WORD_0
	v_or_b32_sdwa v6, v9, v21 dst_sel:DWORD dst_unused:UNUSED_PAD src0_sel:DWORD src1_sel:WORD_0
	;; [unrolled: 1-line block ×3, first 2 shown]
	buffer_store_dword v8, v0, s[4:7], s0 offen
	v_or_b32_sdwa v0, v3, v22 dst_sel:DWORD dst_unused:UNUSED_PAD src0_sel:DWORD src1_sel:WORD_0
	v_or_b32_sdwa v2, v2, v24 dst_sel:DWORD dst_unused:UNUSED_PAD src0_sel:DWORD src1_sel:WORD_0
	buffer_store_dword v5, v10, s[4:7], s0 offen
	buffer_store_dword v6, v11, s[4:7], s0 offen
	;; [unrolled: 1-line block ×5, first 2 shown]
	s_endpgm
	.section	.rodata,"a",@progbits
	.p2align	6, 0x0
	.amdhsa_kernel fft_rtc_back_len240_factors_8_5_6_wgs_384_tpt_48_half_ip_CI_sbcc_twdbase8_2step_dirReg_intrinsicReadWrite
		.amdhsa_group_segment_fixed_size 0
		.amdhsa_private_segment_fixed_size 0
		.amdhsa_kernarg_size 96
		.amdhsa_user_sgpr_count 6
		.amdhsa_user_sgpr_private_segment_buffer 1
		.amdhsa_user_sgpr_dispatch_ptr 0
		.amdhsa_user_sgpr_queue_ptr 0
		.amdhsa_user_sgpr_kernarg_segment_ptr 1
		.amdhsa_user_sgpr_dispatch_id 0
		.amdhsa_user_sgpr_flat_scratch_init 0
		.amdhsa_user_sgpr_private_segment_size 0
		.amdhsa_wavefront_size32 1
		.amdhsa_uses_dynamic_stack 0
		.amdhsa_system_sgpr_private_segment_wavefront_offset 0
		.amdhsa_system_sgpr_workgroup_id_x 1
		.amdhsa_system_sgpr_workgroup_id_y 0
		.amdhsa_system_sgpr_workgroup_id_z 0
		.amdhsa_system_sgpr_workgroup_info 0
		.amdhsa_system_vgpr_workitem_id 0
		.amdhsa_next_free_vgpr 50
		.amdhsa_next_free_sgpr 43
		.amdhsa_reserve_vcc 1
		.amdhsa_reserve_flat_scratch 0
		.amdhsa_float_round_mode_32 0
		.amdhsa_float_round_mode_16_64 0
		.amdhsa_float_denorm_mode_32 3
		.amdhsa_float_denorm_mode_16_64 3
		.amdhsa_dx10_clamp 1
		.amdhsa_ieee_mode 1
		.amdhsa_fp16_overflow 0
		.amdhsa_workgroup_processor_mode 1
		.amdhsa_memory_ordered 1
		.amdhsa_forward_progress 0
		.amdhsa_shared_vgpr_count 0
		.amdhsa_exception_fp_ieee_invalid_op 0
		.amdhsa_exception_fp_denorm_src 0
		.amdhsa_exception_fp_ieee_div_zero 0
		.amdhsa_exception_fp_ieee_overflow 0
		.amdhsa_exception_fp_ieee_underflow 0
		.amdhsa_exception_fp_ieee_inexact 0
		.amdhsa_exception_int_div_zero 0
	.end_amdhsa_kernel
	.text
.Lfunc_end0:
	.size	fft_rtc_back_len240_factors_8_5_6_wgs_384_tpt_48_half_ip_CI_sbcc_twdbase8_2step_dirReg_intrinsicReadWrite, .Lfunc_end0-fft_rtc_back_len240_factors_8_5_6_wgs_384_tpt_48_half_ip_CI_sbcc_twdbase8_2step_dirReg_intrinsicReadWrite
                                        ; -- End function
	.section	.AMDGPU.csdata,"",@progbits
; Kernel info:
; codeLenInByte = 4320
; NumSgprs: 45
; NumVgprs: 50
; ScratchSize: 0
; MemoryBound: 0
; FloatMode: 240
; IeeeMode: 1
; LDSByteSize: 0 bytes/workgroup (compile time only)
; SGPRBlocks: 5
; VGPRBlocks: 6
; NumSGPRsForWavesPerEU: 45
; NumVGPRsForWavesPerEU: 50
; Occupancy: 15
; WaveLimiterHint : 0
; COMPUTE_PGM_RSRC2:SCRATCH_EN: 0
; COMPUTE_PGM_RSRC2:USER_SGPR: 6
; COMPUTE_PGM_RSRC2:TRAP_HANDLER: 0
; COMPUTE_PGM_RSRC2:TGID_X_EN: 1
; COMPUTE_PGM_RSRC2:TGID_Y_EN: 0
; COMPUTE_PGM_RSRC2:TGID_Z_EN: 0
; COMPUTE_PGM_RSRC2:TIDIG_COMP_CNT: 0
	.text
	.p2alignl 6, 3214868480
	.fill 48, 4, 3214868480
	.type	__hip_cuid_6c7879c3fe269c39,@object ; @__hip_cuid_6c7879c3fe269c39
	.section	.bss,"aw",@nobits
	.globl	__hip_cuid_6c7879c3fe269c39
__hip_cuid_6c7879c3fe269c39:
	.byte	0                               ; 0x0
	.size	__hip_cuid_6c7879c3fe269c39, 1

	.ident	"AMD clang version 19.0.0git (https://github.com/RadeonOpenCompute/llvm-project roc-6.4.0 25133 c7fe45cf4b819c5991fe208aaa96edf142730f1d)"
	.section	".note.GNU-stack","",@progbits
	.addrsig
	.addrsig_sym __hip_cuid_6c7879c3fe269c39
	.amdgpu_metadata
---
amdhsa.kernels:
  - .args:
      - .actual_access:  read_only
        .address_space:  global
        .offset:         0
        .size:           8
        .value_kind:     global_buffer
      - .address_space:  global
        .offset:         8
        .size:           8
        .value_kind:     global_buffer
      - .offset:         16
        .size:           8
        .value_kind:     by_value
      - .actual_access:  read_only
        .address_space:  global
        .offset:         24
        .size:           8
        .value_kind:     global_buffer
      - .actual_access:  read_only
        .address_space:  global
        .offset:         32
        .size:           8
        .value_kind:     global_buffer
      - .offset:         40
        .size:           8
        .value_kind:     by_value
      - .actual_access:  read_only
        .address_space:  global
        .offset:         48
        .size:           8
        .value_kind:     global_buffer
      - .actual_access:  read_only
        .address_space:  global
        .offset:         56
        .size:           8
        .value_kind:     global_buffer
      - .offset:         64
        .size:           4
        .value_kind:     by_value
      - .actual_access:  read_only
        .address_space:  global
        .offset:         72
        .size:           8
        .value_kind:     global_buffer
      - .actual_access:  read_only
        .address_space:  global
        .offset:         80
        .size:           8
        .value_kind:     global_buffer
      - .address_space:  global
        .offset:         88
        .size:           8
        .value_kind:     global_buffer
    .group_segment_fixed_size: 0
    .kernarg_segment_align: 8
    .kernarg_segment_size: 96
    .language:       OpenCL C
    .language_version:
      - 2
      - 0
    .max_flat_workgroup_size: 384
    .name:           fft_rtc_back_len240_factors_8_5_6_wgs_384_tpt_48_half_ip_CI_sbcc_twdbase8_2step_dirReg_intrinsicReadWrite
    .private_segment_fixed_size: 0
    .sgpr_count:     45
    .sgpr_spill_count: 0
    .symbol:         fft_rtc_back_len240_factors_8_5_6_wgs_384_tpt_48_half_ip_CI_sbcc_twdbase8_2step_dirReg_intrinsicReadWrite.kd
    .uniform_work_group_size: 1
    .uses_dynamic_stack: false
    .vgpr_count:     50
    .vgpr_spill_count: 0
    .wavefront_size: 32
    .workgroup_processor_mode: 1
amdhsa.target:   amdgcn-amd-amdhsa--gfx1030
amdhsa.version:
  - 1
  - 2
...

	.end_amdgpu_metadata
